;; amdgpu-corpus repo=zjin-lcf/HeCBench kind=compiled arch=gfx1250 opt=O3
	.amdgcn_target "amdgcn-amd-amdhsa--gfx1250"
	.amdhsa_code_object_version 6
	.text
	.protected	_Z11elementwiseiiPKfS0_S0_PfS1_S1_S0_S1_ ; -- Begin function _Z11elementwiseiiPKfS0_S0_PfS1_S1_S0_S1_
	.globl	_Z11elementwiseiiPKfS0_S0_PfS1_S1_S0_S1_
	.p2align	8
	.type	_Z11elementwiseiiPKfS0_S0_PfS1_S1_S0_S1_,@function
_Z11elementwiseiiPKfS0_S0_PfS1_S1_S0_S1_: ; @_Z11elementwiseiiPKfS0_S0_PfS1_S1_S0_S1_
; %bb.0:
	s_clause 0x1
	s_load_b32 s4, s[0:1], 0x54
	s_load_b64 s[2:3], s[0:1], 0x0
	s_bfe_u32 s5, ttmp6, 0x4000c
	s_and_b32 s6, ttmp6, 15
	s_add_co_i32 s5, s5, 1
	s_getreg_b32 s7, hwreg(HW_REG_IB_STS2, 6, 4)
	s_mul_i32 s5, ttmp9, s5
	s_delay_alu instid0(SALU_CYCLE_1)
	s_add_co_i32 s6, s6, s5
	s_wait_kmcnt 0x0
	s_and_b32 s4, s4, 0xffff
	s_cmp_eq_u32 s7, 0
	s_mul_i32 s3, s3, s2
	s_cselect_b32 s5, ttmp9, s6
	s_delay_alu instid0(SALU_CYCLE_1) | instskip(NEXT) | instid1(VALU_DEP_1)
	v_mad_u32 v0, s5, s4, v0
	v_cmp_gt_i32_e32 vcc_lo, s3, v0
	s_and_saveexec_b32 s3, vcc_lo
	s_cbranch_execz .LBB0_10
; %bb.1:
	s_abs_i32 s3, s2
	s_lshl_b32 s12, s2, 2
	s_cvt_f32_u32 s4, s3
	s_sub_co_i32 s5, 0, s3
	s_mul_i32 s16, s2, -3
	s_ashr_i32 s13, s12, 31
	v_rcp_iflag_f32_e32 v1, s4
	v_nop
	s_delay_alu instid0(TRANS32_DEP_1) | instskip(SKIP_2) | instid1(VALU_DEP_1)
	v_readfirstlane_b32 s4, v1
	v_sub_nc_u32_e32 v1, 0, v0
	s_mul_f32 s4, s4, 0x4f7ffffe
	v_max_i32_e32 v1, v0, v1
	s_delay_alu instid0(SALU_CYCLE_2) | instskip(NEXT) | instid1(SALU_CYCLE_3)
	s_cvt_u32_f32 s4, s4
	s_mul_i32 s5, s5, s4
	s_delay_alu instid0(SALU_CYCLE_1) | instskip(NEXT) | instid1(SALU_CYCLE_1)
	s_mul_hi_u32 s5, s4, s5
	s_add_co_i32 s4, s4, s5
	s_delay_alu instid0(SALU_CYCLE_1) | instskip(SKIP_1) | instid1(VALU_DEP_1)
	v_mul_hi_u32 v2, v1, s4
	s_load_b256 s[4:11], s[0:1], 0x8
	v_mul_lo_u32 v3, v2, s3
	s_delay_alu instid0(VALU_DEP_1) | instskip(NEXT) | instid1(VALU_DEP_1)
	v_dual_sub_nc_u32 v1, v1, v3 :: v_dual_add_nc_u32 v3, 1, v2
	v_cmp_le_u32_e32 vcc_lo, s3, v1
	s_delay_alu instid0(VALU_DEP_2) | instskip(SKIP_1) | instid1(VALU_DEP_1)
	v_dual_cndmask_b32 v2, v2, v3, vcc_lo :: v_dual_bitop2_b32 v3, s2, v0 bitop3:0x14
	v_subrev_nc_u32_e32 v4, s3, v1
	v_dual_cndmask_b32 v1, v1, v4 :: v_dual_add_nc_u32 v4, 1, v2
	s_delay_alu instid0(VALU_DEP_1) | instskip(NEXT) | instid1(VALU_DEP_4)
	v_cmp_le_u32_e32 vcc_lo, s3, v1
	v_ashrrev_i32_e32 v3, 31, v3
	s_ashr_i32 s3, s2, 31
	s_delay_alu instid0(SALU_CYCLE_1) | instskip(SKIP_1) | instid1(VALU_DEP_1)
	s_lshl_b64 s[14:15], s[2:3], 2
	v_cndmask_b32_e32 v1, v2, v4, vcc_lo
	v_xor_b32_e32 v1, v1, v3
	s_delay_alu instid0(VALU_DEP_1) | instskip(NEXT) | instid1(VALU_DEP_1)
	v_sub_nc_u32_e32 v1, v1, v3
	v_mul_lo_u32 v2, v1, s2
	s_delay_alu instid0(VALU_DEP_1) | instskip(NEXT) | instid1(VALU_DEP_1)
	v_sub_nc_u32_e32 v2, v0, v2
	v_ashrrev_i32_e32 v3, 31, v2
	v_mad_u32 v6, s12, v1, v2
	v_add3_u32 v1, s12, s2, v2
	s_wait_kmcnt 0x0
	s_clause 0x1
	global_load_b32 v12, v6, s[6:7] scale_offset
	global_load_b32 v14, v6, s[4:5] scale_offset
	v_dual_ashrrev_i32 v7, 31, v6 :: v_dual_add_nc_u32 v16, s16, v1
	v_lshl_add_u64 v[4:5], v[2:3], 2, s[8:9]
	v_add3_u32 v24, s2, s2, v6
	s_delay_alu instid0(VALU_DEP_3) | instskip(NEXT) | instid1(VALU_DEP_4)
	v_lshlrev_b64_e32 v[10:11], 2, v[6:7]
	v_add_nc_u32_e32 v7, s12, v16
	s_delay_alu instid0(VALU_DEP_4)
	v_lshl_add_u64 v[8:9], s[12:13], 2, v[4:5]
	s_clause 0x1
	global_load_b32 v13, v2, s[8:9] scale_offset
	global_load_b32 v15, v[8:9], off
	s_wait_xcnt 0x1
	v_add_nc_u64_e32 v[2:3], s[6:7], v[10:11]
	s_wait_xcnt 0x0
	v_add_nc_u64_e32 v[8:9], s[4:5], v[10:11]
	s_clause 0x1
	global_load_b32 v17, v16, s[8:9] scale_offset
	global_load_b32 v19, v7, s[8:9] scale_offset
	s_clause 0x1
	global_load_b32 v16, v24, s[6:7] scale_offset
	global_load_b32 v18, v24, s[4:5] scale_offset
	v_add_nc_u64_e32 v[4:5], s[14:15], v[4:5]
	s_wait_xcnt 0x2
	v_dual_add_nc_u32 v7, s16, v7 :: v_dual_add_nc_u32 v25, s2, v24
	v_add_nc_u64_e32 v[2:3], s[14:15], v[2:3]
	v_add_nc_u64_e32 v[8:9], s[14:15], v[8:9]
	s_clause 0x1
	global_load_b32 v21, v[4:5], off
	global_load_b32 v23, v1, s[8:9] scale_offset
	s_wait_xcnt 0x0
	v_add_nc_u32_e32 v1, s12, v7
	s_clause 0x1
	global_load_b32 v26, v25, s[6:7] scale_offset
	global_load_b32 v27, v25, s[4:5] scale_offset
	global_load_b32 v20, v[2:3], off
	global_load_b32 v22, v[8:9], off
	s_clause 0x1
	global_load_b32 v28, v7, s[8:9] scale_offset
	global_load_b32 v29, v1, s[8:9] scale_offset
	s_wait_xcnt 0x3
	v_add_nc_u64_e32 v[2:3], s[10:11], v[10:11]
	s_load_b128 s[4:7], s[0:1], 0x38
	s_delay_alu instid0(VALU_DEP_1) | instskip(SKIP_4) | instid1(VALU_DEP_1)
	v_add_nc_u64_e32 v[8:9], s[14:15], v[2:3]
	s_wait_loadcnt 0xc
	v_pk_add_f32 v[10:11], v[12:13], v[14:15]
	s_wait_loadcnt 0x8
	v_pk_add_f32 v[4:5], v[16:17], v[18:19]
	v_mov_b32_e32 v2, v5
	s_wait_loadcnt 0x2
	v_pk_add_f32 v[12:13], v[20:21], v[22:23]
	s_wait_loadcnt 0x0
	v_dual_add_f32 v7, v26, v27 :: v_dual_add_f32 v14, v28, v29
	v_pk_add_f32 v[2:3], v[4:5], v[2:3]
                                        ; implicit-def: $vgpr5
	s_delay_alu instid0(VALU_DEP_3) | instskip(NEXT) | instid1(VALU_DEP_3)
	v_dual_add_f32 v1, v12, v13 :: v_dual_add_f32 v3, v10, v11
	v_add_f32_e32 v4, v7, v14
	s_delay_alu instid0(VALU_DEP_3)
	v_cmp_ngt_f32_e64 s2, 0x3f200000, |v2|
	s_clause 0x3
	global_store_b32 v6, v3, s[10:11] scale_offset
	global_store_b32 v[8:9], v1, off
	global_store_b32 v24, v2, s[10:11] scale_offset
	global_store_b32 v25, v4, s[10:11] scale_offset
	s_wait_xcnt 0x0
	s_and_saveexec_b32 s3, s2
	s_delay_alu instid0(SALU_CYCLE_1)
	s_xor_b32 s2, exec_lo, s3
	s_cbranch_execz .LBB0_3
; %bb.2:
	v_add_f32_e64 v5, |v2|, |v2|
	s_delay_alu instid0(VALU_DEP_1) | instskip(SKIP_1) | instid1(VALU_DEP_2)
	v_mul_f32_e32 v6, 0x3fb8aa3b, v5
	v_cmp_ngt_f32_e32 vcc_lo, 0xc2ce8ed0, v5
	v_rndne_f32_e32 v7, v6
	v_fma_f32 v8, 0x3fb8aa3b, v5, -v6
	s_delay_alu instid0(VALU_DEP_2) | instskip(NEXT) | instid1(VALU_DEP_2)
	v_sub_f32_e32 v6, v6, v7
	v_fmamk_f32 v8, v5, 0x32a5705f, v8
	v_cvt_i32_f32_e32 v7, v7
	s_delay_alu instid0(VALU_DEP_2) | instskip(NEXT) | instid1(VALU_DEP_1)
	v_add_f32_e32 v6, v6, v8
	v_exp_f32_e32 v6, v6
	v_nop
	s_delay_alu instid0(TRANS32_DEP_1) | instskip(NEXT) | instid1(VALU_DEP_1)
	v_ldexp_f32 v6, v6, v7
	v_cndmask_b32_e32 v6, 0, v6, vcc_lo
	v_cmp_nlt_f32_e32 vcc_lo, 0x42b17218, v5
	s_delay_alu instid0(VALU_DEP_2) | instskip(NEXT) | instid1(VALU_DEP_1)
	v_cndmask_b32_e32 v5, 0x7f800000, v6, vcc_lo
	v_add_f32_e32 v5, 1.0, v5
	s_delay_alu instid0(VALU_DEP_1) | instskip(SKIP_1) | instid1(TRANS32_DEP_1)
	v_rcp_f32_e32 v5, v5
	v_nop
	v_fma_f32 v5, v5, -2.0, 1.0
.LBB0_3:
	s_and_not1_saveexec_b32 s2, s2
	s_cbranch_execz .LBB0_5
; %bb.4:
	v_mul_f32_e32 v5, v2, v2
	s_mov_b32 s3, 0xbbbac73d
	s_delay_alu instid0(VALU_DEP_1) | instid1(SALU_CYCLE_1)
	v_fmaak_f32 v6, s3, v5, 0x3ca908c9
	s_delay_alu instid0(VALU_DEP_1) | instskip(NEXT) | instid1(VALU_DEP_1)
	v_fmaak_f32 v6, v5, v6, 0xbd5c1c4e
	v_fmaak_f32 v6, v5, v6, 0x3e088382
	s_delay_alu instid0(VALU_DEP_1) | instskip(NEXT) | instid1(VALU_DEP_1)
	v_fmaak_f32 v6, v5, v6, 0xbeaaaa99
	v_mul_f32_e64 v6, |v2|, v6
	s_delay_alu instid0(VALU_DEP_1)
	v_fma_f32 v5, v5, v6, |v2|
.LBB0_5:
	s_or_b32 exec_lo, exec_lo, s2
	s_wait_kmcnt 0x0
	global_load_b32 v6, v0, s[4:5] scale_offset
	v_dual_mul_f32 v7, 0xbfb8aa3b, v3 :: v_dual_mul_f32 v8, 0xbfb8aa3b, v1
	v_cmp_nlt_f32_e32 vcc_lo, 0x42ce8ed0, v3
	s_delay_alu instid0(VALU_DEP_2) | instskip(SKIP_1) | instid1(VALU_DEP_4)
	v_rndne_f32_e32 v9, v7
	v_fma_f32 v10, 0xbfb8aa3b, v3, -v7
	v_rndne_f32_e32 v11, v8
	v_fma_f32 v12, 0xbfb8aa3b, v1, -v8
	s_delay_alu instid0(VALU_DEP_3) | instskip(NEXT) | instid1(VALU_DEP_3)
	v_dual_sub_f32 v7, v7, v9 :: v_dual_fmac_f32 v10, 0xb2a5705f, v3
	v_sub_f32_e32 v8, v8, v11
	v_cvt_i32_f32_e32 v9, v9
	s_delay_alu instid0(VALU_DEP_3) | instskip(SKIP_1) | instid1(VALU_DEP_2)
	v_add_f32_e32 v7, v7, v10
	v_cvt_i32_f32_e32 v10, v11
	v_exp_f32_e32 v7, v7
	v_nop
	s_delay_alu instid0(TRANS32_DEP_1) | instskip(NEXT) | instid1(VALU_DEP_1)
	v_ldexp_f32 v7, v7, v9
	v_dual_fmac_f32 v12, 0xb2a5705f, v1 :: v_dual_cndmask_b32 v7, 0, v7
	s_delay_alu instid0(VALU_DEP_1) | instskip(SKIP_1) | instid1(VALU_DEP_2)
	v_add_f32_e32 v8, v8, v12
	v_cmp_nlt_f32_e32 vcc_lo, 0x42ce8ed0, v1
	v_exp_f32_e32 v8, v8
	v_nop
	s_delay_alu instid0(TRANS32_DEP_1) | instskip(NEXT) | instid1(VALU_DEP_1)
	v_ldexp_f32 v8, v8, v10
	v_cndmask_b32_e32 v8, 0, v8, vcc_lo
	v_cmp_ngt_f32_e32 vcc_lo, 0xc2b17218, v3
	v_cndmask_b32_e32 v9, 0x7f800000, v7, vcc_lo
	v_cmp_ngt_f32_e32 vcc_lo, 0xc2b17218, v1
	s_delay_alu instid0(VALU_DEP_4) | instskip(NEXT) | instid1(VALU_DEP_1)
	v_cndmask_b32_e32 v8, 0x7f800000, v8, vcc_lo
	v_pk_add_f32 v[8:9], v[8:9], 1.0 op_sel_hi:[1,0]
	s_delay_alu instid0(VALU_DEP_1) | instskip(NEXT) | instid1(VALU_DEP_2)
	v_div_scale_f32 v1, null, v9, v9, 1.0
	v_div_scale_f32 v7, null, v8, v8, 1.0
	s_delay_alu instid0(VALU_DEP_2) | instskip(NEXT) | instid1(VALU_DEP_1)
	v_rcp_f32_e32 v3, v1
	v_rcp_f32_e32 v11, v7
	s_delay_alu instid0(TRANS32_DEP_2) | instskip(NEXT) | instid1(TRANS32_DEP_1)
	v_fma_f32 v10, -v1, v3, 1.0
	v_fma_f32 v12, -v7, v11, 1.0
	s_delay_alu instid0(VALU_DEP_2) | instskip(SKIP_1) | instid1(VALU_DEP_1)
	v_fmac_f32_e32 v3, v10, v3
	v_div_scale_f32 v10, vcc_lo, 1.0, v9, 1.0
	v_mul_f32_e32 v13, v10, v3
	s_delay_alu instid0(VALU_DEP_4) | instskip(SKIP_1) | instid1(VALU_DEP_3)
	v_fmac_f32_e32 v11, v12, v11
	v_div_scale_f32 v12, s2, 1.0, v8, 1.0
	v_fma_f32 v14, -v1, v13, v10
	s_delay_alu instid0(VALU_DEP_1) | instskip(NEXT) | instid1(VALU_DEP_1)
	v_fmac_f32_e32 v13, v14, v3
	v_dual_mul_f32 v15, v12, v11 :: v_dual_fma_f32 v1, -v1, v13, v10
	s_delay_alu instid0(VALU_DEP_1) | instskip(NEXT) | instid1(VALU_DEP_2)
	v_fma_f32 v14, -v7, v15, v12
	v_div_fmas_f32 v1, v1, v3, v13
	s_delay_alu instid0(VALU_DEP_2) | instskip(SKIP_1) | instid1(VALU_DEP_2)
	v_fmac_f32_e32 v15, v14, v11
	s_mov_b32 vcc_lo, s2
	v_div_fixup_f32 v3, v1, v9, 1.0
	s_delay_alu instid0(VALU_DEP_2) | instskip(NEXT) | instid1(VALU_DEP_1)
	v_fma_f32 v7, -v7, v15, v12
	v_div_fmas_f32 v1, v7, v11, v15
	v_bfi_b32 v7, 0x7fffffff, v5, v2
	s_delay_alu instid0(VALU_DEP_2) | instskip(NEXT) | instid1(VALU_DEP_2)
	v_div_fixup_f32 v2, v1, v8, 1.0
	v_dual_mul_f32 v8, v3, v7 :: v_dual_ashrrev_i32 v1, 31, v0
	s_wait_loadcnt 0x0
	s_delay_alu instid0(VALU_DEP_1) | instskip(NEXT) | instid1(VALU_DEP_1)
	v_pk_fma_f32 v[2:3], v[2:3], v[6:7], v[8:9] op_sel_hi:[1,1,0]
                                        ; implicit-def: $vgpr3
	v_cmp_ngt_f32_e64 s2, 0x3f200000, |v2|
	global_store_b32 v0, v2, s[6:7] scale_offset
	s_wait_xcnt 0x0
	s_and_saveexec_b32 s3, s2
	s_delay_alu instid0(SALU_CYCLE_1)
	s_xor_b32 s2, exec_lo, s3
	s_cbranch_execz .LBB0_7
; %bb.6:
	v_add_f32_e64 v3, |v2|, |v2|
	s_delay_alu instid0(VALU_DEP_1) | instskip(SKIP_1) | instid1(VALU_DEP_2)
	v_mul_f32_e32 v5, 0x3fb8aa3b, v3
	v_cmp_ngt_f32_e32 vcc_lo, 0xc2ce8ed0, v3
	v_rndne_f32_e32 v6, v5
	v_fma_f32 v7, 0x3fb8aa3b, v3, -v5
	s_delay_alu instid0(VALU_DEP_2) | instskip(NEXT) | instid1(VALU_DEP_2)
	v_sub_f32_e32 v5, v5, v6
	v_fmamk_f32 v7, v3, 0x32a5705f, v7
	v_cvt_i32_f32_e32 v6, v6
	s_delay_alu instid0(VALU_DEP_2) | instskip(NEXT) | instid1(VALU_DEP_1)
	v_add_f32_e32 v5, v5, v7
	v_exp_f32_e32 v5, v5
	v_nop
	s_delay_alu instid0(TRANS32_DEP_1) | instskip(NEXT) | instid1(VALU_DEP_1)
	v_ldexp_f32 v5, v5, v6
	v_cndmask_b32_e32 v5, 0, v5, vcc_lo
	v_cmp_nlt_f32_e32 vcc_lo, 0x42b17218, v3
	s_delay_alu instid0(VALU_DEP_2) | instskip(NEXT) | instid1(VALU_DEP_1)
	v_cndmask_b32_e32 v3, 0x7f800000, v5, vcc_lo
	v_add_f32_e32 v3, 1.0, v3
	s_delay_alu instid0(VALU_DEP_1) | instskip(SKIP_1) | instid1(TRANS32_DEP_1)
	v_rcp_f32_e32 v3, v3
	v_nop
	v_fma_f32 v3, v3, -2.0, 1.0
.LBB0_7:
	s_or_saveexec_b32 s2, s2
	s_load_b128 s[4:7], s[0:1], 0x28
	s_xor_b32 exec_lo, exec_lo, s2
	s_cbranch_execz .LBB0_9
; %bb.8:
	v_mul_f32_e32 v3, v2, v2
	s_wait_xcnt 0x0
	s_mov_b32 s0, 0xbbbac73d
	s_delay_alu instid0(VALU_DEP_1) | instid1(SALU_CYCLE_1)
	v_fmaak_f32 v5, s0, v3, 0x3ca908c9
	s_delay_alu instid0(VALU_DEP_1) | instskip(NEXT) | instid1(VALU_DEP_1)
	v_fmaak_f32 v5, v3, v5, 0xbd5c1c4e
	v_fmaak_f32 v5, v3, v5, 0x3e088382
	s_delay_alu instid0(VALU_DEP_1) | instskip(NEXT) | instid1(VALU_DEP_1)
	v_fmaak_f32 v5, v3, v5, 0xbeaaaa99
	v_mul_f32_e64 v5, |v2|, v5
	s_delay_alu instid0(VALU_DEP_1)
	v_fma_f32 v3, v3, v5, |v2|
.LBB0_9:
	s_or_b32 exec_lo, exec_lo, s2
	v_mul_f32_e32 v5, 0xbfb8aa3b, v4
	v_cmp_nlt_f32_e32 vcc_lo, 0x42ce8ed0, v4
	v_lshlrev_b64_e32 v[0:1], 2, v[0:1]
	s_delay_alu instid0(VALU_DEP_3) | instskip(SKIP_1) | instid1(VALU_DEP_2)
	v_rndne_f32_e32 v6, v5
	v_fma_f32 v7, 0xbfb8aa3b, v4, -v5
	v_sub_f32_e32 v5, v5, v6
	s_delay_alu instid0(VALU_DEP_2) | instskip(SKIP_1) | instid1(VALU_DEP_2)
	v_fmamk_f32 v7, v4, 0xb2a5705f, v7
	v_cvt_i32_f32_e32 v6, v6
	v_add_f32_e32 v5, v5, v7
	s_delay_alu instid0(VALU_DEP_1) | instskip(SKIP_1) | instid1(TRANS32_DEP_1)
	v_exp_f32_e32 v5, v5
	v_nop
	v_ldexp_f32 v5, v5, v6
	s_delay_alu instid0(VALU_DEP_1) | instskip(SKIP_1) | instid1(VALU_DEP_2)
	v_cndmask_b32_e32 v5, 0, v5, vcc_lo
	v_cmp_ngt_f32_e32 vcc_lo, 0xc2b17218, v4
	v_cndmask_b32_e32 v4, 0x7f800000, v5, vcc_lo
	s_delay_alu instid0(VALU_DEP_1) | instskip(NEXT) | instid1(VALU_DEP_1)
	v_add_f32_e32 v4, 1.0, v4
	v_div_scale_f32 v5, null, v4, v4, 1.0
	v_div_scale_f32 v8, vcc_lo, 1.0, v4, 1.0
	s_delay_alu instid0(VALU_DEP_2) | instskip(SKIP_1) | instid1(TRANS32_DEP_1)
	v_rcp_f32_e32 v6, v5
	v_nop
	v_fma_f32 v7, -v5, v6, 1.0
	s_delay_alu instid0(VALU_DEP_1) | instskip(NEXT) | instid1(VALU_DEP_1)
	v_fmac_f32_e32 v6, v7, v6
	v_mul_f32_e32 v7, v8, v6
	s_delay_alu instid0(VALU_DEP_1) | instskip(NEXT) | instid1(VALU_DEP_1)
	v_fma_f32 v9, -v5, v7, v8
	v_fmac_f32_e32 v7, v9, v6
	s_delay_alu instid0(VALU_DEP_1) | instskip(NEXT) | instid1(VALU_DEP_1)
	v_fma_f32 v5, -v5, v7, v8
	v_div_fmas_f32 v5, v5, v6, v7
	v_bfi_b32 v6, 0x7fffffff, v3, v2
	s_wait_kmcnt 0x0
	v_add_nc_u64_e32 v[2:3], s[4:5], v[0:1]
	v_add_nc_u64_e32 v[0:1], s[6:7], v[0:1]
	v_div_fixup_f32 v4, v5, v4, 1.0
	s_delay_alu instid0(VALU_DEP_1)
	v_mul_f32_e32 v4, v4, v6
	global_store_b32 v[2:3], v4, off
	global_store_b32 v[0:1], v4, off
.LBB0_10:
	s_endpgm
	.section	.rodata,"a",@progbits
	.p2align	6, 0x0
	.amdhsa_kernel _Z11elementwiseiiPKfS0_S0_PfS1_S1_S0_S1_
		.amdhsa_group_segment_fixed_size 0
		.amdhsa_private_segment_fixed_size 0
		.amdhsa_kernarg_size 328
		.amdhsa_user_sgpr_count 2
		.amdhsa_user_sgpr_dispatch_ptr 0
		.amdhsa_user_sgpr_queue_ptr 0
		.amdhsa_user_sgpr_kernarg_segment_ptr 1
		.amdhsa_user_sgpr_dispatch_id 0
		.amdhsa_user_sgpr_kernarg_preload_length 0
		.amdhsa_user_sgpr_kernarg_preload_offset 0
		.amdhsa_user_sgpr_private_segment_size 0
		.amdhsa_wavefront_size32 1
		.amdhsa_uses_dynamic_stack 0
		.amdhsa_enable_private_segment 0
		.amdhsa_system_sgpr_workgroup_id_x 1
		.amdhsa_system_sgpr_workgroup_id_y 0
		.amdhsa_system_sgpr_workgroup_id_z 0
		.amdhsa_system_sgpr_workgroup_info 0
		.amdhsa_system_vgpr_workitem_id 0
		.amdhsa_next_free_vgpr 30
		.amdhsa_next_free_sgpr 17
		.amdhsa_named_barrier_count 0
		.amdhsa_reserve_vcc 1
		.amdhsa_float_round_mode_32 0
		.amdhsa_float_round_mode_16_64 0
		.amdhsa_float_denorm_mode_32 3
		.amdhsa_float_denorm_mode_16_64 3
		.amdhsa_fp16_overflow 0
		.amdhsa_memory_ordered 1
		.amdhsa_forward_progress 1
		.amdhsa_inst_pref_size 17
		.amdhsa_round_robin_scheduling 0
		.amdhsa_exception_fp_ieee_invalid_op 0
		.amdhsa_exception_fp_denorm_src 0
		.amdhsa_exception_fp_ieee_div_zero 0
		.amdhsa_exception_fp_ieee_overflow 0
		.amdhsa_exception_fp_ieee_underflow 0
		.amdhsa_exception_fp_ieee_inexact 0
		.amdhsa_exception_int_div_zero 0
	.end_amdhsa_kernel
	.text
.Lfunc_end0:
	.size	_Z11elementwiseiiPKfS0_S0_PfS1_S1_S0_S1_, .Lfunc_end0-_Z11elementwiseiiPKfS0_S0_PfS1_S1_S0_S1_
                                        ; -- End function
	.set _Z11elementwiseiiPKfS0_S0_PfS1_S1_S0_S1_.num_vgpr, 30
	.set _Z11elementwiseiiPKfS0_S0_PfS1_S1_S0_S1_.num_agpr, 0
	.set _Z11elementwiseiiPKfS0_S0_PfS1_S1_S0_S1_.numbered_sgpr, 17
	.set _Z11elementwiseiiPKfS0_S0_PfS1_S1_S0_S1_.num_named_barrier, 0
	.set _Z11elementwiseiiPKfS0_S0_PfS1_S1_S0_S1_.private_seg_size, 0
	.set _Z11elementwiseiiPKfS0_S0_PfS1_S1_S0_S1_.uses_vcc, 1
	.set _Z11elementwiseiiPKfS0_S0_PfS1_S1_S0_S1_.uses_flat_scratch, 0
	.set _Z11elementwiseiiPKfS0_S0_PfS1_S1_S0_S1_.has_dyn_sized_stack, 0
	.set _Z11elementwiseiiPKfS0_S0_PfS1_S1_S0_S1_.has_recursion, 0
	.set _Z11elementwiseiiPKfS0_S0_PfS1_S1_S0_S1_.has_indirect_call, 0
	.section	.AMDGPU.csdata,"",@progbits
; Kernel info:
; codeLenInByte = 2084
; TotalNumSgprs: 19
; NumVgprs: 30
; ScratchSize: 0
; MemoryBound: 0
; FloatMode: 240
; IeeeMode: 1
; LDSByteSize: 0 bytes/workgroup (compile time only)
; SGPRBlocks: 0
; VGPRBlocks: 1
; NumSGPRsForWavesPerEU: 19
; NumVGPRsForWavesPerEU: 30
; NamedBarCnt: 0
; Occupancy: 16
; WaveLimiterHint : 0
; COMPUTE_PGM_RSRC2:SCRATCH_EN: 0
; COMPUTE_PGM_RSRC2:USER_SGPR: 2
; COMPUTE_PGM_RSRC2:TRAP_HANDLER: 0
; COMPUTE_PGM_RSRC2:TGID_X_EN: 1
; COMPUTE_PGM_RSRC2:TGID_Y_EN: 0
; COMPUTE_PGM_RSRC2:TGID_Z_EN: 0
; COMPUTE_PGM_RSRC2:TIDIG_COMP_CNT: 0
	.text
	.protected	_Z4initPfi              ; -- Begin function _Z4initPfi
	.globl	_Z4initPfi
	.p2align	8
	.type	_Z4initPfi,@function
_Z4initPfi:                             ; @_Z4initPfi
; %bb.0:
	s_clause 0x1
	s_load_b32 s3, s[0:1], 0x1c
	s_load_b32 s2, s[0:1], 0x8
	s_bfe_u32 s4, ttmp6, 0x4000c
	s_and_b32 s5, ttmp6, 15
	s_add_co_i32 s4, s4, 1
	s_getreg_b32 s6, hwreg(HW_REG_IB_STS2, 6, 4)
	s_mul_i32 s4, ttmp9, s4
	s_delay_alu instid0(SALU_CYCLE_1) | instskip(SKIP_4) | instid1(SALU_CYCLE_1)
	s_add_co_i32 s5, s5, s4
	s_wait_kmcnt 0x0
	s_and_b32 s3, s3, 0xffff
	s_cmp_eq_u32 s6, 0
	s_cselect_b32 s4, ttmp9, s5
	v_mad_u32 v0, s4, s3, v0
	s_mov_b32 s3, exec_lo
	s_delay_alu instid0(VALU_DEP_1)
	v_cmpx_gt_i32_e64 s2, v0
	s_cbranch_execz .LBB1_2
; %bb.1:
	v_xor_b32_e32 v1, s2, v0
	s_load_b64 s[0:1], s[0:1], 0x0
	s_delay_alu instid0(VALU_DEP_1) | instskip(NEXT) | instid1(VALU_DEP_1)
	v_mad_u32 v1, 0x1984a2d, v1, 1
	v_and_b32_e32 v1, 0x7fffffff, v1
	s_delay_alu instid0(VALU_DEP_1) | instskip(NEXT) | instid1(VALU_DEP_1)
	v_cvt_f32_u32_e32 v1, v1
	v_mul_f32_e32 v1, 0x30000000, v1
	s_wait_kmcnt 0x0
	global_store_b32 v0, v1, s[0:1] scale_offset
.LBB1_2:
	s_endpgm
	.section	.rodata,"a",@progbits
	.p2align	6, 0x0
	.amdhsa_kernel _Z4initPfi
		.amdhsa_group_segment_fixed_size 0
		.amdhsa_private_segment_fixed_size 0
		.amdhsa_kernarg_size 272
		.amdhsa_user_sgpr_count 2
		.amdhsa_user_sgpr_dispatch_ptr 0
		.amdhsa_user_sgpr_queue_ptr 0
		.amdhsa_user_sgpr_kernarg_segment_ptr 1
		.amdhsa_user_sgpr_dispatch_id 0
		.amdhsa_user_sgpr_kernarg_preload_length 0
		.amdhsa_user_sgpr_kernarg_preload_offset 0
		.amdhsa_user_sgpr_private_segment_size 0
		.amdhsa_wavefront_size32 1
		.amdhsa_uses_dynamic_stack 0
		.amdhsa_enable_private_segment 0
		.amdhsa_system_sgpr_workgroup_id_x 1
		.amdhsa_system_sgpr_workgroup_id_y 0
		.amdhsa_system_sgpr_workgroup_id_z 0
		.amdhsa_system_sgpr_workgroup_info 0
		.amdhsa_system_vgpr_workitem_id 0
		.amdhsa_next_free_vgpr 2
		.amdhsa_next_free_sgpr 7
		.amdhsa_named_barrier_count 0
		.amdhsa_reserve_vcc 0
		.amdhsa_float_round_mode_32 0
		.amdhsa_float_round_mode_16_64 0
		.amdhsa_float_denorm_mode_32 3
		.amdhsa_float_denorm_mode_16_64 3
		.amdhsa_fp16_overflow 0
		.amdhsa_memory_ordered 1
		.amdhsa_forward_progress 1
		.amdhsa_inst_pref_size 2
		.amdhsa_round_robin_scheduling 0
		.amdhsa_exception_fp_ieee_invalid_op 0
		.amdhsa_exception_fp_denorm_src 0
		.amdhsa_exception_fp_ieee_div_zero 0
		.amdhsa_exception_fp_ieee_overflow 0
		.amdhsa_exception_fp_ieee_underflow 0
		.amdhsa_exception_fp_ieee_inexact 0
		.amdhsa_exception_int_div_zero 0
	.end_amdhsa_kernel
	.text
.Lfunc_end1:
	.size	_Z4initPfi, .Lfunc_end1-_Z4initPfi
                                        ; -- End function
	.set _Z4initPfi.num_vgpr, 2
	.set _Z4initPfi.num_agpr, 0
	.set _Z4initPfi.numbered_sgpr, 7
	.set _Z4initPfi.num_named_barrier, 0
	.set _Z4initPfi.private_seg_size, 0
	.set _Z4initPfi.uses_vcc, 0
	.set _Z4initPfi.uses_flat_scratch, 0
	.set _Z4initPfi.has_dyn_sized_stack, 0
	.set _Z4initPfi.has_recursion, 0
	.set _Z4initPfi.has_indirect_call, 0
	.section	.AMDGPU.csdata,"",@progbits
; Kernel info:
; codeLenInByte = 172
; TotalNumSgprs: 7
; NumVgprs: 2
; ScratchSize: 0
; MemoryBound: 0
; FloatMode: 240
; IeeeMode: 1
; LDSByteSize: 0 bytes/workgroup (compile time only)
; SGPRBlocks: 0
; VGPRBlocks: 0
; NumSGPRsForWavesPerEU: 7
; NumVGPRsForWavesPerEU: 2
; NamedBarCnt: 0
; Occupancy: 16
; WaveLimiterHint : 0
; COMPUTE_PGM_RSRC2:SCRATCH_EN: 0
; COMPUTE_PGM_RSRC2:USER_SGPR: 2
; COMPUTE_PGM_RSRC2:TRAP_HANDLER: 0
; COMPUTE_PGM_RSRC2:TGID_X_EN: 1
; COMPUTE_PGM_RSRC2:TGID_Y_EN: 0
; COMPUTE_PGM_RSRC2:TGID_Z_EN: 0
; COMPUTE_PGM_RSRC2:TIDIG_COMP_CNT: 0
	.text
	.p2alignl 7, 3214868480
	.fill 96, 4, 3214868480
	.section	.AMDGPU.gpr_maximums,"",@progbits
	.set amdgpu.max_num_vgpr, 0
	.set amdgpu.max_num_agpr, 0
	.set amdgpu.max_num_sgpr, 0
	.text
	.type	__hip_cuid_a0b9c0c35cdf7932,@object ; @__hip_cuid_a0b9c0c35cdf7932
	.section	.bss,"aw",@nobits
	.globl	__hip_cuid_a0b9c0c35cdf7932
__hip_cuid_a0b9c0c35cdf7932:
	.byte	0                               ; 0x0
	.size	__hip_cuid_a0b9c0c35cdf7932, 1

	.ident	"AMD clang version 22.0.0git (https://github.com/RadeonOpenCompute/llvm-project roc-7.2.4 26084 f58b06dce1f9c15707c5f808fd002e18c2accf7e)"
	.section	".note.GNU-stack","",@progbits
	.addrsig
	.addrsig_sym __hip_cuid_a0b9c0c35cdf7932
	.amdgpu_metadata
---
amdhsa.kernels:
  - .args:
      - .offset:         0
        .size:           4
        .value_kind:     by_value
      - .offset:         4
        .size:           4
        .value_kind:     by_value
      - .actual_access:  read_only
        .address_space:  global
        .offset:         8
        .size:           8
        .value_kind:     global_buffer
      - .actual_access:  read_only
        .address_space:  global
        .offset:         16
        .size:           8
        .value_kind:     global_buffer
      - .actual_access:  read_only
        .address_space:  global
        .offset:         24
        .size:           8
        .value_kind:     global_buffer
      - .actual_access:  write_only
        .address_space:  global
        .offset:         32
        .size:           8
        .value_kind:     global_buffer
      - .actual_access:  write_only
        .address_space:  global
        .offset:         40
        .size:           8
        .value_kind:     global_buffer
      - .actual_access:  write_only
        .address_space:  global
        .offset:         48
        .size:           8
        .value_kind:     global_buffer
      - .actual_access:  read_only
        .address_space:  global
        .offset:         56
        .size:           8
        .value_kind:     global_buffer
      - .actual_access:  write_only
        .address_space:  global
        .offset:         64
        .size:           8
        .value_kind:     global_buffer
      - .offset:         72
        .size:           4
        .value_kind:     hidden_block_count_x
      - .offset:         76
        .size:           4
        .value_kind:     hidden_block_count_y
      - .offset:         80
        .size:           4
        .value_kind:     hidden_block_count_z
      - .offset:         84
        .size:           2
        .value_kind:     hidden_group_size_x
      - .offset:         86
        .size:           2
        .value_kind:     hidden_group_size_y
      - .offset:         88
        .size:           2
        .value_kind:     hidden_group_size_z
      - .offset:         90
        .size:           2
        .value_kind:     hidden_remainder_x
      - .offset:         92
        .size:           2
        .value_kind:     hidden_remainder_y
      - .offset:         94
        .size:           2
        .value_kind:     hidden_remainder_z
      - .offset:         112
        .size:           8
        .value_kind:     hidden_global_offset_x
      - .offset:         120
        .size:           8
        .value_kind:     hidden_global_offset_y
      - .offset:         128
        .size:           8
        .value_kind:     hidden_global_offset_z
      - .offset:         136
        .size:           2
        .value_kind:     hidden_grid_dims
    .group_segment_fixed_size: 0
    .kernarg_segment_align: 8
    .kernarg_segment_size: 328
    .language:       OpenCL C
    .language_version:
      - 2
      - 0
    .max_flat_workgroup_size: 1024
    .name:           _Z11elementwiseiiPKfS0_S0_PfS1_S1_S0_S1_
    .private_segment_fixed_size: 0
    .sgpr_count:     19
    .sgpr_spill_count: 0
    .symbol:         _Z11elementwiseiiPKfS0_S0_PfS1_S1_S0_S1_.kd
    .uniform_work_group_size: 1
    .uses_dynamic_stack: false
    .vgpr_count:     30
    .vgpr_spill_count: 0
    .wavefront_size: 32
  - .args:
      - .address_space:  global
        .offset:         0
        .size:           8
        .value_kind:     global_buffer
      - .offset:         8
        .size:           4
        .value_kind:     by_value
      - .offset:         16
        .size:           4
        .value_kind:     hidden_block_count_x
      - .offset:         20
        .size:           4
        .value_kind:     hidden_block_count_y
      - .offset:         24
        .size:           4
        .value_kind:     hidden_block_count_z
      - .offset:         28
        .size:           2
        .value_kind:     hidden_group_size_x
      - .offset:         30
        .size:           2
        .value_kind:     hidden_group_size_y
      - .offset:         32
        .size:           2
        .value_kind:     hidden_group_size_z
      - .offset:         34
        .size:           2
        .value_kind:     hidden_remainder_x
      - .offset:         36
        .size:           2
        .value_kind:     hidden_remainder_y
      - .offset:         38
        .size:           2
        .value_kind:     hidden_remainder_z
      - .offset:         56
        .size:           8
        .value_kind:     hidden_global_offset_x
      - .offset:         64
        .size:           8
        .value_kind:     hidden_global_offset_y
      - .offset:         72
        .size:           8
        .value_kind:     hidden_global_offset_z
      - .offset:         80
        .size:           2
        .value_kind:     hidden_grid_dims
    .group_segment_fixed_size: 0
    .kernarg_segment_align: 8
    .kernarg_segment_size: 272
    .language:       OpenCL C
    .language_version:
      - 2
      - 0
    .max_flat_workgroup_size: 1024
    .name:           _Z4initPfi
    .private_segment_fixed_size: 0
    .sgpr_count:     7
    .sgpr_spill_count: 0
    .symbol:         _Z4initPfi.kd
    .uniform_work_group_size: 1
    .uses_dynamic_stack: false
    .vgpr_count:     2
    .vgpr_spill_count: 0
    .wavefront_size: 32
amdhsa.target:   amdgcn-amd-amdhsa--gfx1250
amdhsa.version:
  - 1
  - 2
...

	.end_amdgpu_metadata
